;; amdgpu-corpus repo=ROCm/aiter kind=harvested arch=n/a opt=n/a

/root/src/amdgpu-assembly/repos/ROCm__aiter/hsa/gfx950/topksoftmax/topksoftmax_4x128x4.co:	file format elf64-amdgpu

Disassembly of section .text:

0000000000001c00 <_ZN5aiter19topksoftmax_4x128x4E>:
	s_and_b32 s1, s1, 0xffff                                   // 000000001C00: 8601FF01 0000FFFF
	s_load_dwordx2 s[4:5], s[0:1], 0x0                         // 000000001C08: C0060100 00000000
	s_load_dwordx2 s[8:9], s[0:1], 0x10                        // 000000001C10: C0060200 00000010
	s_load_dwordx2 s[12:13], s[0:1], 0x20                      // 000000001C18: C0060300 00000020
	s_load_dword s16, s[0:1], 0x30                             // 000000001C20: C0020400 00000030
	s_load_dword s17, s[0:1], 0x40                             // 000000001C28: C0020440 00000040
	s_load_dword s18, s[0:1], 0x50                             // 000000001C30: C0020480 00000050
	s_load_dword s42, s[0:1], 0x60                             // 000000001C38: C0020A80 00000060
	s_load_dword s43, s[0:1], 0x70                             // 000000001C40: C0020AC0 00000070
	v_lshrrev_b32_e32 v1, 10, v0                               // 000000001C48: 2002008A
	v_lshrrev_b32_e32 v2, 10, v1                               // 000000001C4C: 2004028A
	v_and_b32_e32 v2, 0x3ff, v2                                // 000000001C50: 260404FF 000003FF
	v_and_b32_e32 v1, 0x3ff, v1                                // 000000001C58: 260202FF 000003FF
	v_and_b32_e32 v0, 0x3ff, v0                                // 000000001C60: 260000FF 000003FF
	v_lshrrev_b32_e32 v3, 6, v0                                // 000000001C68: 20060086
	v_and_b32_e32 v0, 63, v0                                   // 000000001C6C: 260000BF
	s_mov_b32 s19, s2                                          // 000000001C70: BE930002
	v_readfirstlane_b32 s40, v3                                // 000000001C74: 7E500503
	s_waitcnt lgkmcnt(0)                                       // 000000001C78: BF8CC07F
	s_mov_b32 s6, -16                                          // 000000001C7C: BE8600D0
	s_mov_b32 s10, -16                                         // 000000001C80: BE8A00D0
	s_mov_b32 s14, -16                                         // 000000001C84: BE8E00D0
	s_mov_b32 s7, 0x20000                                      // 000000001C88: BE8700FF 00020000
	s_mov_b32 s11, 0x20000                                     // 000000001C90: BE8B00FF 00020000
	s_mov_b32 s15, 0x20000                                     // 000000001C98: BE8F00FF 00020000
	s_and_b32 s5, s5, 0xffff                                   // 000000001CA0: 8605FF05 0000FFFF
	s_and_b32 s9, s9, 0xffff                                   // 000000001CA8: 8609FF09 0000FFFF
	s_and_b32 s13, s13, 0xffff                                 // 000000001CB0: 860DFF0D 0000FFFF
	s_or_b32 s5, s5, 0x40000                                   // 000000001CB8: 8705FF05 00040000
	s_or_b32 s9, s9, 0x40000                                   // 000000001CC0: 8709FF09 00040000
	s_or_b32 s13, s13, 0x40000                                 // 000000001CC8: 870DFF0D 00040000
	s_mul_i32 s20, s16, s17                                    // 000000001CD0: 92141110
	s_mul_i32 s20, s20, 4                                      // 000000001CD4: 92148414
	s_mov_b32 s14, s20                                         // 000000001CD8: BE8E0014
	v_lshlrev_b32_e32 v8, 2, v0                                // 000000001CDC: 24100082
	s_mul_i32 s20, s17, 4                                      // 000000001CE0: 92148411
	s_mul_i32 s21, s19, 4                                      // 000000001CE4: 92158413
	s_add_i32 s21, s21, s40                                    // 000000001CE8: 81152815
	s_mul_i32 s20, s20, s21                                    // 000000001CEC: 92141514
	v_add_u32_e32 v8, s20, v8                                  // 000000001CF0: 68101014
	buffer_load_dword v11, v8, s[12:15], 0 offen               // 000000001CF4: E0501000 80030B08
	buffer_load_dword v12, v8, s[12:15], 0 offen offset:256    // 000000001CFC: E0501100 80030C08
	v_mov_b32_e32 v15, 0                                       // 000000001D04: 7E1E0280
	v_mov_b32_e32 v16, 0                                       // 000000001D08: 7E200280
	v_mov_b32_e32 v17, 0                                       // 000000001D0C: 7E220280
	v_mov_b32_e32 v18, 0                                       // 000000001D10: 7E240280
	v_mov_b32_e32 v13, 0                                       // 000000001D14: 7E1A0280
	v_mov_b32_e32 v14, 0                                       // 000000001D18: 7E1C0280
	v_mov_b32_e32 v19, 0                                       // 000000001D1C: 7E260280
	s_mov_b32 s18, 4                                           // 000000001D20: BE920084
	v_lshlrev_b32_e32 v9, 2, v0                                // 000000001D24: 24120082
	s_mov_b32 s20, s43                                         // 000000001D28: BE94002B
	s_mul_i32 s21, s19, 4                                      // 000000001D2C: 92158413
	s_add_i32 s21, s21, s40                                    // 000000001D30: 81152815
	s_mul_i32 s20, s20, s21                                    // 000000001D34: 92141514
	v_add_u32_e32 v9, s20, v9                                  // 000000001D38: 68121214
	v_mov_b32_e32 v10, v9                                      // 000000001D3C: 7E140309
	s_mul_i32 s20, s16, s43                                    // 000000001D40: 92142B10
	s_mov_b32 s6, s20                                          // 000000001D44: BE860014
	s_mov_b32 s10, s20                                         // 000000001D48: BE8A0014
	s_mov_b32 s41, 0x3fb8aa3b                                  // 000000001D4C: BEA900FF 3FB8AA3B
	s_mov_b32 s32, 0                                           // 000000001D54: BEA00080
	s_mov_b32 s36, 1                                           // 000000001D58: BEA40081
	s_mov_b32 s33, 0                                           // 000000001D5C: BEA10080
	s_mov_b32 s37, 1                                           // 000000001D60: BEA50081
	s_mov_b32 s34, 0                                           // 000000001D64: BEA20080
	s_mov_b32 s38, 1                                           // 000000001D68: BEA60081
	s_mov_b32 s35, 0                                           // 000000001D6C: BEA30080
	s_mov_b32 s39, 1                                           // 000000001D70: BEA70081
	s_waitcnt vmcnt(0) expcnt(0) lgkmcnt(0)                    // 000000001D74: BF8C0000
	v_mul_f32_e64 v11, v11, s41                                // 000000001D78: D105000B 0000530B
	v_exp_f32_e32 v11, v11                                     // 000000001D80: 7E16410B
	v_mul_f32_e64 v12, v12, s41                                // 000000001D84: D105000C 0000530C
	v_exp_f32_e32 v12, v12                                     // 000000001D8C: 7E18410C
	s_nop 0                                                    // 000000001D90: BF800000
	v_add_f32_e32 v15, v15, v11                                // 000000001D94: 021E170F
	v_add_f32_e32 v15, v15, v12                                // 000000001D98: 021E190F
	s_nop 1                                                    // 000000001D9C: BF800001
	v_add_f32_dpp v4, v15, v15 quad_perm:[1,0,3,2] row_mask:0xf bank_mask:0xf// 000000001DA0: 02081EFA FF00B10F
	s_nop 1                                                    // 000000001DA8: BF800001
	v_add_f32_dpp v4, v4, v4 quad_perm:[2,3,0,1] row_mask:0xf bank_mask:0xf// 000000001DAC: 020808FA FF004E04
	s_nop 1                                                    // 000000001DB4: BF800001
	v_add_f32_dpp v4, v4, v4 row_shr:4 row_mask:0xf bank_mask:0xf// 000000001DB8: 020808FA FF011404
	s_nop 1                                                    // 000000001DC0: BF800001
	v_add_f32_dpp v4, v4, v4 row_shr:8 row_mask:0xf bank_mask:0xf// 000000001DC4: 020808FA FF011804
	s_nop 1                                                    // 000000001DCC: BF800001
	v_add_f32_dpp v4, v4, v4 row_bcast:15 row_mask:0xf bank_mask:0xf// 000000001DD0: 020808FA FF014204
	s_nop 1                                                    // 000000001DD8: BF800001
	v_add_f32_dpp v4, v4, v4 row_bcast:31 row_mask:0xf bank_mask:0xf// 000000001DDC: 020808FA FF014304
	s_nop 0                                                    // 000000001DE4: BF800000
	v_readlane_b32 s20, v4, 63                                 // 000000001DE8: D2890014 00017F04
	v_mov_b32_e32 v16, s20                                     // 000000001DF0: 7E200214
	v_rcp_f32_e32 v15, v16                                     // 000000001DF4: 7E1E4510
	s_nop 0                                                    // 000000001DF8: BF800000
	v_mul_f32_e32 v11, v11, v15                                // 000000001DFC: 0A161F0B
	v_mul_f32_e32 v12, v12, v15                                // 000000001E00: 0A181F0C
	s_cmp_eq_u32 s42, 0                                        // 000000001E04: BF06802A
	s_cbranch_scc0 label_0155                                  // 000000001E08: BF8400D2
	v_max_f32_e32 v17, v11, v12                                // 000000001E0C: 1622190B
	s_nop 1                                                    // 000000001E10: BF800001
	v_max_f32_dpp v4, v17, v17 quad_perm:[1,0,3,2] row_mask:0xf bank_mask:0xf// 000000001E14: 160822FA FF00B111
	s_nop 1                                                    // 000000001E1C: BF800001
	v_max_f32_dpp v4, v4, v4 quad_perm:[2,3,0,1] row_mask:0xf bank_mask:0xf// 000000001E20: 160808FA FF004E04
	s_nop 1                                                    // 000000001E28: BF800001
	v_max_f32_dpp v4, v4, v4 row_shr:4 row_mask:0xf bank_mask:0xf// 000000001E2C: 160808FA FF011404
	s_nop 1                                                    // 000000001E34: BF800001
	v_max_f32_dpp v4, v4, v4 row_shr:8 row_mask:0xf bank_mask:0xf// 000000001E38: 160808FA FF011804
	s_nop 1                                                    // 000000001E40: BF800001
	v_max_f32_dpp v4, v4, v4 row_bcast:15 row_mask:0xf bank_mask:0xf// 000000001E44: 160808FA FF014204
	s_nop 1                                                    // 000000001E4C: BF800001
	v_max_f32_dpp v4, v4, v4 row_bcast:31 row_mask:0xf bank_mask:0xf// 000000001E50: 160808FA FF014304
	s_nop 0                                                    // 000000001E58: BF800000
	v_readlane_b32 s20, v4, 63                                 // 000000001E5C: D2890014 00017F04
	v_mov_b32_e32 v17, s20                                     // 000000001E64: 7E220214
	v_cmp_eq_f32_e64 s[24:25], v17, v11                        // 000000001E68: D0420018 00021711
	v_cmp_eq_f32_e64 s[26:27], v17, v12                        // 000000001E70: D042001A 00021911
	s_ff1_i32_b64 s28, s[24:25]                                // 000000001E78: BE9C1118
	s_ff1_i32_b64 s29, s[26:27]                                // 000000001E7C: BE9D111A
	v_readlane_b32 s20, v17, 0                                 // 000000001E80: D2890014 00010111
	v_writelane_b32 v14, s20, 0                                // 000000001E88: D28A000E 00010014
	s_mov_b32 s22, s28                                         // 000000001E90: BE96001C
	s_cmp_eq_u32 s28, -1                                       // 000000001E94: BF06C11C
	s_cselect_b32 s21, 1, 0                                    // 000000001E98: 85158081
	s_cbranch_scc0 label_00AE                                  // 000000001E9C: BF840006
	s_add_u32 s32, s21, s32                                    // 000000001EA0: 80202015
	s_mov_b32 s22, s29                                         // 000000001EA4: BE96001D
	s_cmp_eq_u32 s29, -1                                       // 000000001EA8: BF06C11D
	s_cselect_b32 s21, 1, 0                                    // 000000001EAC: 85158081
	s_cbranch_scc0 label_00AE                                  // 000000001EB0: BF840001
	s_add_u32 s32, s21, s32                                    // 000000001EB4: 80202015

0000000000001eb8 <label_00AE>:
	s_set_gpr_idx_on s32, gpr_idx(DST)                         // 000000001EB8: BF110820
	v_writelane_b32 v11, 0, s22                                // 000000001EBC: D28A000B 00002C80
	s_set_gpr_idx_off                                          // 000000001EC4: BF9C0000
	s_mul_i32 s32, 64, s32                                     // 000000001EC8: 922020C0
	s_add_u32 s32, s22, s32                                    // 000000001ECC: 80202016
	v_writelane_b32 v13, s32, 0                                // 000000001ED0: D28A000D 00010020
	v_max_f32_e32 v17, v11, v12                                // 000000001ED8: 1622190B
	s_nop 1                                                    // 000000001EDC: BF800001
	v_max_f32_dpp v4, v17, v17 quad_perm:[1,0,3,2] row_mask:0xf bank_mask:0xf// 000000001EE0: 160822FA FF00B111
	s_nop 1                                                    // 000000001EE8: BF800001
	v_max_f32_dpp v4, v4, v4 quad_perm:[2,3,0,1] row_mask:0xf bank_mask:0xf// 000000001EEC: 160808FA FF004E04
	s_nop 1                                                    // 000000001EF4: BF800001
	v_max_f32_dpp v4, v4, v4 row_shr:4 row_mask:0xf bank_mask:0xf// 000000001EF8: 160808FA FF011404
	s_nop 1                                                    // 000000001F00: BF800001
	v_max_f32_dpp v4, v4, v4 row_shr:8 row_mask:0xf bank_mask:0xf// 000000001F04: 160808FA FF011804
	s_nop 1                                                    // 000000001F0C: BF800001
	v_max_f32_dpp v4, v4, v4 row_bcast:15 row_mask:0xf bank_mask:0xf// 000000001F10: 160808FA FF014204
	s_nop 1                                                    // 000000001F18: BF800001
	v_max_f32_dpp v4, v4, v4 row_bcast:31 row_mask:0xf bank_mask:0xf// 000000001F1C: 160808FA FF014304
	s_nop 0                                                    // 000000001F24: BF800000
	v_readlane_b32 s20, v4, 63                                 // 000000001F28: D2890014 00017F04
	v_mov_b32_e32 v17, s20                                     // 000000001F30: 7E220214
	v_cmp_eq_f32_e64 s[24:25], v17, v11                        // 000000001F34: D0420018 00021711
	v_cmp_eq_f32_e64 s[26:27], v17, v12                        // 000000001F3C: D042001A 00021911
	s_ff1_i32_b64 s28, s[24:25]                                // 000000001F44: BE9C1118
	s_ff1_i32_b64 s29, s[26:27]                                // 000000001F48: BE9D111A
	v_readlane_b32 s20, v17, 0                                 // 000000001F4C: D2890014 00010111
	v_writelane_b32 v14, s20, 1                                // 000000001F54: D28A000E 00010214
	s_mov_b32 s22, s28                                         // 000000001F5C: BE96001C
	s_cmp_eq_u32 s28, -1                                       // 000000001F60: BF06C11C
	s_cselect_b32 s21, 1, 0                                    // 000000001F64: 85158081
	s_cbranch_scc0 label_00E1                                  // 000000001F68: BF840006
	s_add_u32 s33, s21, s33                                    // 000000001F6C: 80212115
	s_mov_b32 s22, s29                                         // 000000001F70: BE96001D
	s_cmp_eq_u32 s29, -1                                       // 000000001F74: BF06C11D
	s_cselect_b32 s21, 1, 0                                    // 000000001F78: 85158081
	s_cbranch_scc0 label_00E1                                  // 000000001F7C: BF840001
	s_add_u32 s33, s21, s33                                    // 000000001F80: 80212115

0000000000001f84 <label_00E1>:
	s_set_gpr_idx_on s33, gpr_idx(DST)                         // 000000001F84: BF110821
	v_writelane_b32 v11, 0, s22                                // 000000001F88: D28A000B 00002C80
	s_set_gpr_idx_off                                          // 000000001F90: BF9C0000
	s_mul_i32 s33, 64, s33                                     // 000000001F94: 922121C0
	s_add_u32 s33, s22, s33                                    // 000000001F98: 80212116
	v_writelane_b32 v13, s33, 1                                // 000000001F9C: D28A000D 00010221
	v_max_f32_e32 v17, v11, v12                                // 000000001FA4: 1622190B
	s_nop 1                                                    // 000000001FA8: BF800001
	v_max_f32_dpp v4, v17, v17 quad_perm:[1,0,3,2] row_mask:0xf bank_mask:0xf// 000000001FAC: 160822FA FF00B111
	s_nop 1                                                    // 000000001FB4: BF800001
	v_max_f32_dpp v4, v4, v4 quad_perm:[2,3,0,1] row_mask:0xf bank_mask:0xf// 000000001FB8: 160808FA FF004E04
	s_nop 1                                                    // 000000001FC0: BF800001
	v_max_f32_dpp v4, v4, v4 row_shr:4 row_mask:0xf bank_mask:0xf// 000000001FC4: 160808FA FF011404
	s_nop 1                                                    // 000000001FCC: BF800001
	v_max_f32_dpp v4, v4, v4 row_shr:8 row_mask:0xf bank_mask:0xf// 000000001FD0: 160808FA FF011804
	s_nop 1                                                    // 000000001FD8: BF800001
	v_max_f32_dpp v4, v4, v4 row_bcast:15 row_mask:0xf bank_mask:0xf// 000000001FDC: 160808FA FF014204
	s_nop 1                                                    // 000000001FE4: BF800001
	v_max_f32_dpp v4, v4, v4 row_bcast:31 row_mask:0xf bank_mask:0xf// 000000001FE8: 160808FA FF014304
	s_nop 0                                                    // 000000001FF0: BF800000
	v_readlane_b32 s20, v4, 63                                 // 000000001FF4: D2890014 00017F04
	v_mov_b32_e32 v17, s20                                     // 000000001FFC: 7E220214
	v_cmp_eq_f32_e64 s[24:25], v17, v11                        // 000000002000: D0420018 00021711
	v_cmp_eq_f32_e64 s[26:27], v17, v12                        // 000000002008: D042001A 00021911
	s_ff1_i32_b64 s28, s[24:25]                                // 000000002010: BE9C1118
	s_ff1_i32_b64 s29, s[26:27]                                // 000000002014: BE9D111A
	v_readlane_b32 s20, v17, 0                                 // 000000002018: D2890014 00010111
	v_writelane_b32 v14, s20, 2                                // 000000002020: D28A000E 00010414
	s_mov_b32 s22, s28                                         // 000000002028: BE96001C
	s_cmp_eq_u32 s28, -1                                       // 00000000202C: BF06C11C
	s_cselect_b32 s21, 1, 0                                    // 000000002030: 85158081
	s_cbranch_scc0 label_0114                                  // 000000002034: BF840006
	s_add_u32 s34, s21, s34                                    // 000000002038: 80222215
	s_mov_b32 s22, s29                                         // 00000000203C: BE96001D
	s_cmp_eq_u32 s29, -1                                       // 000000002040: BF06C11D
	s_cselect_b32 s21, 1, 0                                    // 000000002044: 85158081
	s_cbranch_scc0 label_0114                                  // 000000002048: BF840001
	s_add_u32 s34, s21, s34                                    // 00000000204C: 80222215

0000000000002050 <label_0114>:
	s_set_gpr_idx_on s34, gpr_idx(DST)                         // 000000002050: BF110822
	v_writelane_b32 v11, 0, s22                                // 000000002054: D28A000B 00002C80
	s_set_gpr_idx_off                                          // 00000000205C: BF9C0000
	s_mul_i32 s34, 64, s34                                     // 000000002060: 922222C0
	s_add_u32 s34, s22, s34                                    // 000000002064: 80222216
	v_writelane_b32 v13, s34, 2                                // 000000002068: D28A000D 00010422
	v_max_f32_e32 v17, v11, v12                                // 000000002070: 1622190B
	s_nop 1                                                    // 000000002074: BF800001
	v_max_f32_dpp v4, v17, v17 quad_perm:[1,0,3,2] row_mask:0xf bank_mask:0xf// 000000002078: 160822FA FF00B111
	s_nop 1                                                    // 000000002080: BF800001
	v_max_f32_dpp v4, v4, v4 quad_perm:[2,3,0,1] row_mask:0xf bank_mask:0xf// 000000002084: 160808FA FF004E04
	s_nop 1                                                    // 00000000208C: BF800001
	v_max_f32_dpp v4, v4, v4 row_shr:4 row_mask:0xf bank_mask:0xf// 000000002090: 160808FA FF011404
	s_nop 1                                                    // 000000002098: BF800001
	v_max_f32_dpp v4, v4, v4 row_shr:8 row_mask:0xf bank_mask:0xf// 00000000209C: 160808FA FF011804
	s_nop 1                                                    // 0000000020A4: BF800001
	v_max_f32_dpp v4, v4, v4 row_bcast:15 row_mask:0xf bank_mask:0xf// 0000000020A8: 160808FA FF014204
	s_nop 1                                                    // 0000000020B0: BF800001
	v_max_f32_dpp v4, v4, v4 row_bcast:31 row_mask:0xf bank_mask:0xf// 0000000020B4: 160808FA FF014304
	s_nop 0                                                    // 0000000020BC: BF800000
	v_readlane_b32 s20, v4, 63                                 // 0000000020C0: D2890014 00017F04
	v_mov_b32_e32 v17, s20                                     // 0000000020C8: 7E220214
	v_cmp_eq_f32_e64 s[24:25], v17, v11                        // 0000000020CC: D0420018 00021711
	v_cmp_eq_f32_e64 s[26:27], v17, v12                        // 0000000020D4: D042001A 00021911
	s_ff1_i32_b64 s28, s[24:25]                                // 0000000020DC: BE9C1118
	s_ff1_i32_b64 s29, s[26:27]                                // 0000000020E0: BE9D111A
	v_readlane_b32 s20, v17, 0                                 // 0000000020E4: D2890014 00010111
	v_writelane_b32 v14, s20, 3                                // 0000000020EC: D28A000E 00010614
	s_mov_b32 s22, s28                                         // 0000000020F4: BE96001C
	s_cmp_eq_u32 s28, -1                                       // 0000000020F8: BF06C11C
	s_cselect_b32 s21, 1, 0                                    // 0000000020FC: 85158081
	s_cbranch_scc0 label_0147                                  // 000000002100: BF840006
	s_add_u32 s35, s21, s35                                    // 000000002104: 80232315
	s_mov_b32 s22, s29                                         // 000000002108: BE96001D
	s_cmp_eq_u32 s29, -1                                       // 00000000210C: BF06C11D
	s_cselect_b32 s21, 1, 0                                    // 000000002110: 85158081
	s_cbranch_scc0 label_0147                                  // 000000002114: BF840001
	s_add_u32 s35, s21, s35                                    // 000000002118: 80232315

000000000000211c <label_0147>:
	s_set_gpr_idx_on s35, gpr_idx(DST)                         // 00000000211C: BF110823
	v_writelane_b32 v11, 0, s22                                // 000000002120: D28A000B 00002C80
	s_set_gpr_idx_off                                          // 000000002128: BF9C0000
	s_mul_i32 s35, 64, s35                                     // 00000000212C: 922323C0
	s_add_u32 s35, s22, s35                                    // 000000002130: 80232316
	v_writelane_b32 v13, s35, 3                                // 000000002134: D28A000D 00010623
	s_bfm_b64 exec, s18, 0                                     // 00000000213C: 91FE8012
	buffer_store_dword v13, v9, s[4:7], 0 offen                // 000000002140: E0701000 80010D09
	buffer_store_dword v14, v10, s[8:11], 0 offen              // 000000002148: E0701000 80020E0A
	s_branch label_022D                                        // 000000002150: BF8200D8

0000000000002154 <label_0155>:
	v_max_f32_e32 v17, v11, v12                                // 000000002154: 1622190B
	s_nop 1                                                    // 000000002158: BF800001
	v_max_f32_dpp v4, v17, v17 quad_perm:[1,0,3,2] row_mask:0xf bank_mask:0xf// 00000000215C: 160822FA FF00B111
	s_nop 1                                                    // 000000002164: BF800001
	v_max_f32_dpp v4, v4, v4 quad_perm:[2,3,0,1] row_mask:0xf bank_mask:0xf// 000000002168: 160808FA FF004E04
	s_nop 1                                                    // 000000002170: BF800001
	v_max_f32_dpp v4, v4, v4 row_shr:4 row_mask:0xf bank_mask:0xf// 000000002174: 160808FA FF011404
	s_nop 1                                                    // 00000000217C: BF800001
	v_max_f32_dpp v4, v4, v4 row_shr:8 row_mask:0xf bank_mask:0xf// 000000002180: 160808FA FF011804
	s_nop 1                                                    // 000000002188: BF800001
	v_max_f32_dpp v4, v4, v4 row_bcast:15 row_mask:0xf bank_mask:0xf// 00000000218C: 160808FA FF014204
	s_nop 1                                                    // 000000002194: BF800001
	v_max_f32_dpp v4, v4, v4 row_bcast:31 row_mask:0xf bank_mask:0xf// 000000002198: 160808FA FF014304
	s_nop 0                                                    // 0000000021A0: BF800000
	v_readlane_b32 s20, v4, 63                                 // 0000000021A4: D2890014 00017F04
	v_mov_b32_e32 v17, s20                                     // 0000000021AC: 7E220214
	v_add_f32_e32 v19, v19, v17                                // 0000000021B0: 02262313
	v_cmp_eq_f32_e64 s[24:25], v17, v11                        // 0000000021B4: D0420018 00021711
	v_cmp_eq_f32_e64 s[26:27], v17, v12                        // 0000000021BC: D042001A 00021911
	s_ff1_i32_b64 s28, s[24:25]                                // 0000000021C4: BE9C1118
	s_ff1_i32_b64 s29, s[26:27]                                // 0000000021C8: BE9D111A
	v_readlane_b32 s20, v17, 0                                 // 0000000021CC: D2890014 00010111
	v_writelane_b32 v14, s20, 0                                // 0000000021D4: D28A000E 00010014
	s_mov_b32 s22, s28                                         // 0000000021DC: BE96001C
	s_cmp_eq_u32 s28, -1                                       // 0000000021E0: BF06C11C
	s_cselect_b32 s21, 1, 0                                    // 0000000021E4: 85158081
	s_cbranch_scc0 label_0181                                  // 0000000021E8: BF840006
	s_add_u32 s32, s21, s32                                    // 0000000021EC: 80202015
	s_mov_b32 s22, s29                                         // 0000000021F0: BE96001D
	s_cmp_eq_u32 s29, -1                                       // 0000000021F4: BF06C11D
	s_cselect_b32 s21, 1, 0                                    // 0000000021F8: 85158081
	s_cbranch_scc0 label_0181                                  // 0000000021FC: BF840001
	s_add_u32 s32, s21, s32                                    // 000000002200: 80202015

0000000000002204 <label_0181>:
	s_set_gpr_idx_on s32, gpr_idx(DST)                         // 000000002204: BF110820
	v_writelane_b32 v11, 0, s22                                // 000000002208: D28A000B 00002C80
	s_set_gpr_idx_off                                          // 000000002210: BF9C0000
	s_mul_i32 s32, 64, s32                                     // 000000002214: 922020C0
	s_add_u32 s32, s22, s32                                    // 000000002218: 80202016
	v_writelane_b32 v13, s32, 0                                // 00000000221C: D28A000D 00010020
	v_max_f32_e32 v17, v11, v12                                // 000000002224: 1622190B
	s_nop 1                                                    // 000000002228: BF800001
	v_max_f32_dpp v4, v17, v17 quad_perm:[1,0,3,2] row_mask:0xf bank_mask:0xf// 00000000222C: 160822FA FF00B111
	s_nop 1                                                    // 000000002234: BF800001
	v_max_f32_dpp v4, v4, v4 quad_perm:[2,3,0,1] row_mask:0xf bank_mask:0xf// 000000002238: 160808FA FF004E04
	s_nop 1                                                    // 000000002240: BF800001
	v_max_f32_dpp v4, v4, v4 row_shr:4 row_mask:0xf bank_mask:0xf// 000000002244: 160808FA FF011404
	s_nop 1                                                    // 00000000224C: BF800001
	v_max_f32_dpp v4, v4, v4 row_shr:8 row_mask:0xf bank_mask:0xf// 000000002250: 160808FA FF011804
	s_nop 1                                                    // 000000002258: BF800001
	v_max_f32_dpp v4, v4, v4 row_bcast:15 row_mask:0xf bank_mask:0xf// 00000000225C: 160808FA FF014204
	s_nop 1                                                    // 000000002264: BF800001
	v_max_f32_dpp v4, v4, v4 row_bcast:31 row_mask:0xf bank_mask:0xf// 000000002268: 160808FA FF014304
	s_nop 0                                                    // 000000002270: BF800000
	v_readlane_b32 s20, v4, 63                                 // 000000002274: D2890014 00017F04
	v_mov_b32_e32 v17, s20                                     // 00000000227C: 7E220214
	v_add_f32_e32 v19, v19, v17                                // 000000002280: 02262313
	v_cmp_eq_f32_e64 s[24:25], v17, v11                        // 000000002284: D0420018 00021711
	v_cmp_eq_f32_e64 s[26:27], v17, v12                        // 00000000228C: D042001A 00021911
	s_ff1_i32_b64 s28, s[24:25]                                // 000000002294: BE9C1118
	s_ff1_i32_b64 s29, s[26:27]                                // 000000002298: BE9D111A
	v_readlane_b32 s20, v17, 0                                 // 00000000229C: D2890014 00010111
	v_writelane_b32 v14, s20, 1                                // 0000000022A4: D28A000E 00010214
	s_mov_b32 s22, s28                                         // 0000000022AC: BE96001C
	s_cmp_eq_u32 s28, -1                                       // 0000000022B0: BF06C11C
	s_cselect_b32 s21, 1, 0                                    // 0000000022B4: 85158081
	s_cbranch_scc0 label_01B5                                  // 0000000022B8: BF840006
	s_add_u32 s33, s21, s33                                    // 0000000022BC: 80212115
	s_mov_b32 s22, s29                                         // 0000000022C0: BE96001D
	s_cmp_eq_u32 s29, -1                                       // 0000000022C4: BF06C11D
	s_cselect_b32 s21, 1, 0                                    // 0000000022C8: 85158081
	s_cbranch_scc0 label_01B5                                  // 0000000022CC: BF840001
	s_add_u32 s33, s21, s33                                    // 0000000022D0: 80212115

00000000000022d4 <label_01B5>:
	s_set_gpr_idx_on s33, gpr_idx(DST)                         // 0000000022D4: BF110821
	v_writelane_b32 v11, 0, s22                                // 0000000022D8: D28A000B 00002C80
	s_set_gpr_idx_off                                          // 0000000022E0: BF9C0000
	s_mul_i32 s33, 64, s33                                     // 0000000022E4: 922121C0
	s_add_u32 s33, s22, s33                                    // 0000000022E8: 80212116
	v_writelane_b32 v13, s33, 1                                // 0000000022EC: D28A000D 00010221
	v_max_f32_e32 v17, v11, v12                                // 0000000022F4: 1622190B
	s_nop 1                                                    // 0000000022F8: BF800001
	v_max_f32_dpp v4, v17, v17 quad_perm:[1,0,3,2] row_mask:0xf bank_mask:0xf// 0000000022FC: 160822FA FF00B111
	s_nop 1                                                    // 000000002304: BF800001
	v_max_f32_dpp v4, v4, v4 quad_perm:[2,3,0,1] row_mask:0xf bank_mask:0xf// 000000002308: 160808FA FF004E04
	s_nop 1                                                    // 000000002310: BF800001
	v_max_f32_dpp v4, v4, v4 row_shr:4 row_mask:0xf bank_mask:0xf// 000000002314: 160808FA FF011404
	s_nop 1                                                    // 00000000231C: BF800001
	v_max_f32_dpp v4, v4, v4 row_shr:8 row_mask:0xf bank_mask:0xf// 000000002320: 160808FA FF011804
	s_nop 1                                                    // 000000002328: BF800001
	v_max_f32_dpp v4, v4, v4 row_bcast:15 row_mask:0xf bank_mask:0xf// 00000000232C: 160808FA FF014204
	s_nop 1                                                    // 000000002334: BF800001
	v_max_f32_dpp v4, v4, v4 row_bcast:31 row_mask:0xf bank_mask:0xf// 000000002338: 160808FA FF014304
	s_nop 0                                                    // 000000002340: BF800000
	v_readlane_b32 s20, v4, 63                                 // 000000002344: D2890014 00017F04
	v_mov_b32_e32 v17, s20                                     // 00000000234C: 7E220214
	v_add_f32_e32 v19, v19, v17                                // 000000002350: 02262313
	v_cmp_eq_f32_e64 s[24:25], v17, v11                        // 000000002354: D0420018 00021711
	v_cmp_eq_f32_e64 s[26:27], v17, v12                        // 00000000235C: D042001A 00021911
	s_ff1_i32_b64 s28, s[24:25]                                // 000000002364: BE9C1118
	s_ff1_i32_b64 s29, s[26:27]                                // 000000002368: BE9D111A
	v_readlane_b32 s20, v17, 0                                 // 00000000236C: D2890014 00010111
	v_writelane_b32 v14, s20, 2                                // 000000002374: D28A000E 00010414
	s_mov_b32 s22, s28                                         // 00000000237C: BE96001C
	s_cmp_eq_u32 s28, -1                                       // 000000002380: BF06C11C
	s_cselect_b32 s21, 1, 0                                    // 000000002384: 85158081
	s_cbranch_scc0 label_01E9                                  // 000000002388: BF840006
	s_add_u32 s34, s21, s34                                    // 00000000238C: 80222215
	s_mov_b32 s22, s29                                         // 000000002390: BE96001D
	s_cmp_eq_u32 s29, -1                                       // 000000002394: BF06C11D
	s_cselect_b32 s21, 1, 0                                    // 000000002398: 85158081
	s_cbranch_scc0 label_01E9                                  // 00000000239C: BF840001
	s_add_u32 s34, s21, s34                                    // 0000000023A0: 80222215

00000000000023a4 <label_01E9>:
	s_set_gpr_idx_on s34, gpr_idx(DST)                         // 0000000023A4: BF110822
	v_writelane_b32 v11, 0, s22                                // 0000000023A8: D28A000B 00002C80
	s_set_gpr_idx_off                                          // 0000000023B0: BF9C0000
	s_mul_i32 s34, 64, s34                                     // 0000000023B4: 922222C0
	s_add_u32 s34, s22, s34                                    // 0000000023B8: 80222216
	v_writelane_b32 v13, s34, 2                                // 0000000023BC: D28A000D 00010422
	v_max_f32_e32 v17, v11, v12                                // 0000000023C4: 1622190B
	s_nop 1                                                    // 0000000023C8: BF800001
	v_max_f32_dpp v4, v17, v17 quad_perm:[1,0,3,2] row_mask:0xf bank_mask:0xf// 0000000023CC: 160822FA FF00B111
	s_nop 1                                                    // 0000000023D4: BF800001
	v_max_f32_dpp v4, v4, v4 quad_perm:[2,3,0,1] row_mask:0xf bank_mask:0xf// 0000000023D8: 160808FA FF004E04
	s_nop 1                                                    // 0000000023E0: BF800001
	v_max_f32_dpp v4, v4, v4 row_shr:4 row_mask:0xf bank_mask:0xf// 0000000023E4: 160808FA FF011404
	s_nop 1                                                    // 0000000023EC: BF800001
	v_max_f32_dpp v4, v4, v4 row_shr:8 row_mask:0xf bank_mask:0xf// 0000000023F0: 160808FA FF011804
	s_nop 1                                                    // 0000000023F8: BF800001
	v_max_f32_dpp v4, v4, v4 row_bcast:15 row_mask:0xf bank_mask:0xf// 0000000023FC: 160808FA FF014204
	s_nop 1                                                    // 000000002404: BF800001
	v_max_f32_dpp v4, v4, v4 row_bcast:31 row_mask:0xf bank_mask:0xf// 000000002408: 160808FA FF014304
	s_nop 0                                                    // 000000002410: BF800000
	v_readlane_b32 s20, v4, 63                                 // 000000002414: D2890014 00017F04
	v_mov_b32_e32 v17, s20                                     // 00000000241C: 7E220214
	v_add_f32_e32 v19, v19, v17                                // 000000002420: 02262313
	v_cmp_eq_f32_e64 s[24:25], v17, v11                        // 000000002424: D0420018 00021711
	v_cmp_eq_f32_e64 s[26:27], v17, v12                        // 00000000242C: D042001A 00021911
	s_ff1_i32_b64 s28, s[24:25]                                // 000000002434: BE9C1118
	s_ff1_i32_b64 s29, s[26:27]                                // 000000002438: BE9D111A
	v_readlane_b32 s20, v17, 0                                 // 00000000243C: D2890014 00010111
	v_writelane_b32 v14, s20, 3                                // 000000002444: D28A000E 00010614
	s_mov_b32 s22, s28                                         // 00000000244C: BE96001C
	s_cmp_eq_u32 s28, -1                                       // 000000002450: BF06C11C
	s_cselect_b32 s21, 1, 0                                    // 000000002454: 85158081
	s_cbranch_scc0 label_021D                                  // 000000002458: BF840006
	s_add_u32 s35, s21, s35                                    // 00000000245C: 80232315
	s_mov_b32 s22, s29                                         // 000000002460: BE96001D
	s_cmp_eq_u32 s29, -1                                       // 000000002464: BF06C11D
	s_cselect_b32 s21, 1, 0                                    // 000000002468: 85158081
	s_cbranch_scc0 label_021D                                  // 00000000246C: BF840001
	s_add_u32 s35, s21, s35                                    // 000000002470: 80232315

0000000000002474 <label_021D>:
	s_set_gpr_idx_on s35, gpr_idx(DST)                         // 000000002474: BF110823
	v_writelane_b32 v11, 0, s22                                // 000000002478: D28A000B 00002C80
	s_set_gpr_idx_off                                          // 000000002480: BF9C0000
	s_mul_i32 s35, 64, s35                                     // 000000002484: 922323C0
	s_add_u32 s35, s22, s35                                    // 000000002488: 80232316
	v_writelane_b32 v13, s35, 3                                // 00000000248C: D28A000D 00010623
	s_bfm_b64 exec, s18, 0                                     // 000000002494: 91FE8012
	buffer_store_dword v13, v9, s[4:7], 0 offen                // 000000002498: E0701000 80010D09
	v_rcp_f32_e32 v19, v19                                     // 0000000024A0: 7E264513
	s_nop 0                                                    // 0000000024A4: BF800000
	v_mul_f32_e32 v14, v14, v19                                // 0000000024A8: 0A1C270E
	buffer_store_dword v14, v10, s[8:11], 0 offen              // 0000000024AC: E0701000 80020E0A

00000000000024b4 <label_022D>:
	s_waitcnt vmcnt(0) expcnt(0) lgkmcnt(0)                    // 0000000024B4: BF8C0000
	s_endpgm                                                   // 0000000024B8: BF810000
